;; amdgpu-corpus repo=ROCm/rocFFT kind=compiled arch=gfx950 opt=O3
	.text
	.amdgcn_target "amdgcn-amd-amdhsa--gfx950"
	.amdhsa_code_object_version 6
	.protected	fft_rtc_fwd_len400_factors_4_10_10_wgs_120_tpt_40_halfLds_half_op_CI_CI_unitstride_sbrr_dirReg ; -- Begin function fft_rtc_fwd_len400_factors_4_10_10_wgs_120_tpt_40_halfLds_half_op_CI_CI_unitstride_sbrr_dirReg
	.globl	fft_rtc_fwd_len400_factors_4_10_10_wgs_120_tpt_40_halfLds_half_op_CI_CI_unitstride_sbrr_dirReg
	.p2align	8
	.type	fft_rtc_fwd_len400_factors_4_10_10_wgs_120_tpt_40_halfLds_half_op_CI_CI_unitstride_sbrr_dirReg,@function
fft_rtc_fwd_len400_factors_4_10_10_wgs_120_tpt_40_halfLds_half_op_CI_CI_unitstride_sbrr_dirReg: ; @fft_rtc_fwd_len400_factors_4_10_10_wgs_120_tpt_40_halfLds_half_op_CI_CI_unitstride_sbrr_dirReg
; %bb.0:
	s_load_dwordx4 s[4:7], s[0:1], 0x58
	s_load_dwordx4 s[8:11], s[0:1], 0x0
	;; [unrolled: 1-line block ×3, first 2 shown]
	v_mul_u32_u24_e32 v1, 0x667, v0
	v_lshrrev_b32_e32 v2, 16, v1
	v_mad_u64_u32 v[8:9], s[2:3], s2, 3, v[2:3]
	v_mov_b32_e32 v6, 0
	v_mov_b32_e32 v9, v6
	s_waitcnt lgkmcnt(0)
	v_cmp_lt_u64_e64 s[2:3], s[10:11], 2
	v_mov_b64_e32 v[10:11], 0
	s_and_b64 vcc, exec, s[2:3]
	v_mov_b64_e32 v[2:3], v[10:11]
	v_mov_b64_e32 v[4:5], v[8:9]
	s_cbranch_vccnz .LBB0_8
; %bb.1:
	s_load_dwordx2 s[2:3], s[0:1], 0x10
	s_add_u32 s16, s14, 8
	s_addc_u32 s17, s15, 0
	s_add_u32 s18, s12, 8
	s_addc_u32 s19, s13, 0
	s_waitcnt lgkmcnt(0)
	s_add_u32 s20, s2, 8
	v_mov_b64_e32 v[10:11], 0
	s_addc_u32 s21, s3, 0
	s_mov_b64 s[22:23], 1
	v_mov_b64_e32 v[2:3], v[10:11]
	v_mov_b64_e32 v[12:13], v[8:9]
.LBB0_2:                                ; =>This Inner Loop Header: Depth=1
	s_load_dwordx2 s[24:25], s[20:21], 0x0
                                        ; implicit-def: $vgpr4_vgpr5
	s_waitcnt lgkmcnt(0)
	v_or_b32_e32 v7, s25, v13
	v_cmp_ne_u64_e32 vcc, 0, v[6:7]
	s_and_saveexec_b64 s[2:3], vcc
	s_xor_b64 s[26:27], exec, s[2:3]
	s_cbranch_execz .LBB0_4
; %bb.3:                                ;   in Loop: Header=BB0_2 Depth=1
	v_cvt_f32_u32_e32 v1, s24
	v_cvt_f32_u32_e32 v4, s25
	s_sub_u32 s2, 0, s24
	s_subb_u32 s3, 0, s25
	v_fmac_f32_e32 v1, 0x4f800000, v4
	v_rcp_f32_e32 v1, v1
	s_nop 0
	v_mul_f32_e32 v1, 0x5f7ffffc, v1
	v_mul_f32_e32 v4, 0x2f800000, v1
	v_trunc_f32_e32 v4, v4
	v_fmac_f32_e32 v1, 0xcf800000, v4
	v_cvt_u32_f32_e32 v7, v4
	v_cvt_u32_f32_e32 v1, v1
	v_mul_lo_u32 v4, s2, v7
	v_mul_hi_u32 v9, s2, v1
	v_mul_lo_u32 v5, s3, v1
	v_add_u32_e32 v9, v9, v4
	v_mul_lo_u32 v16, s2, v1
	v_add_u32_e32 v9, v9, v5
	v_mul_hi_u32 v4, v1, v16
	v_mul_hi_u32 v15, v1, v9
	v_mul_lo_u32 v14, v1, v9
	v_mov_b32_e32 v5, v6
	v_lshl_add_u64 v[4:5], v[4:5], 0, v[14:15]
	v_mul_hi_u32 v15, v7, v16
	v_mul_lo_u32 v16, v7, v16
	v_add_co_u32_e32 v4, vcc, v4, v16
	v_mul_hi_u32 v14, v7, v9
	s_nop 0
	v_addc_co_u32_e32 v4, vcc, v5, v15, vcc
	v_mov_b32_e32 v5, v6
	s_nop 0
	v_addc_co_u32_e32 v15, vcc, 0, v14, vcc
	v_mul_lo_u32 v14, v7, v9
	v_lshl_add_u64 v[4:5], v[4:5], 0, v[14:15]
	v_add_co_u32_e32 v1, vcc, v1, v4
	v_mul_lo_u32 v14, s2, v1
	s_nop 0
	v_addc_co_u32_e32 v7, vcc, v7, v5, vcc
	v_mul_lo_u32 v4, s2, v7
	v_mul_hi_u32 v5, s2, v1
	v_add_u32_e32 v4, v5, v4
	v_mul_lo_u32 v5, s3, v1
	v_add_u32_e32 v9, v4, v5
	v_mul_hi_u32 v17, v7, v14
	v_mul_lo_u32 v18, v7, v14
	v_mul_hi_u32 v5, v1, v9
	v_mul_lo_u32 v4, v1, v9
	v_mul_hi_u32 v14, v1, v14
	v_mov_b32_e32 v15, v6
	v_lshl_add_u64 v[4:5], v[14:15], 0, v[4:5]
	v_add_co_u32_e32 v4, vcc, v4, v18
	v_mul_hi_u32 v16, v7, v9
	s_nop 0
	v_addc_co_u32_e32 v4, vcc, v5, v17, vcc
	v_mul_lo_u32 v14, v7, v9
	s_nop 0
	v_addc_co_u32_e32 v15, vcc, 0, v16, vcc
	v_mov_b32_e32 v5, v6
	v_lshl_add_u64 v[4:5], v[4:5], 0, v[14:15]
	v_add_co_u32_e32 v1, vcc, v1, v4
	v_mul_hi_u32 v14, v12, v1
	s_nop 0
	v_addc_co_u32_e32 v7, vcc, v7, v5, vcc
	v_mad_u64_u32 v[4:5], s[2:3], v12, v7, 0
	v_mov_b32_e32 v15, v6
	v_lshl_add_u64 v[4:5], v[14:15], 0, v[4:5]
	v_mad_u64_u32 v[16:17], s[2:3], v13, v1, 0
	v_add_co_u32_e32 v1, vcc, v4, v16
	v_mad_u64_u32 v[14:15], s[2:3], v13, v7, 0
	s_nop 0
	v_addc_co_u32_e32 v4, vcc, v5, v17, vcc
	v_mov_b32_e32 v5, v6
	s_nop 0
	v_addc_co_u32_e32 v15, vcc, 0, v15, vcc
	v_lshl_add_u64 v[4:5], v[4:5], 0, v[14:15]
	v_mul_lo_u32 v1, s25, v4
	v_mul_lo_u32 v7, s24, v5
	v_mad_u64_u32 v[14:15], s[2:3], s24, v4, 0
	v_add3_u32 v1, v15, v7, v1
	v_sub_u32_e32 v7, v13, v1
	v_mov_b32_e32 v9, s25
	v_sub_co_u32_e32 v18, vcc, v12, v14
	v_lshl_add_u64 v[16:17], v[4:5], 0, 1
	s_nop 0
	v_subb_co_u32_e64 v7, s[2:3], v7, v9, vcc
	v_subrev_co_u32_e64 v9, s[2:3], s24, v18
	v_subb_co_u32_e32 v1, vcc, v13, v1, vcc
	s_nop 0
	v_subbrev_co_u32_e64 v7, s[2:3], 0, v7, s[2:3]
	v_cmp_le_u32_e64 s[2:3], s25, v7
	v_cmp_le_u32_e32 vcc, s25, v1
	s_nop 0
	v_cndmask_b32_e64 v14, 0, -1, s[2:3]
	v_cmp_le_u32_e64 s[2:3], s24, v9
	s_nop 1
	v_cndmask_b32_e64 v9, 0, -1, s[2:3]
	v_cmp_eq_u32_e64 s[2:3], s25, v7
	s_nop 1
	v_cndmask_b32_e64 v7, v14, v9, s[2:3]
	v_lshl_add_u64 v[14:15], v[4:5], 0, 2
	v_cmp_ne_u32_e64 s[2:3], 0, v7
	v_cndmask_b32_e64 v9, 0, -1, vcc
	v_cmp_le_u32_e32 vcc, s24, v18
	v_cndmask_b32_e64 v7, v17, v15, s[2:3]
	s_nop 0
	v_cndmask_b32_e64 v15, 0, -1, vcc
	v_cmp_eq_u32_e32 vcc, s25, v1
	s_nop 1
	v_cndmask_b32_e32 v1, v9, v15, vcc
	v_cmp_ne_u32_e32 vcc, 0, v1
	v_cndmask_b32_e64 v1, v16, v14, s[2:3]
	s_nop 0
	v_cndmask_b32_e32 v5, v5, v7, vcc
	v_cndmask_b32_e32 v4, v4, v1, vcc
.LBB0_4:                                ;   in Loop: Header=BB0_2 Depth=1
	s_andn2_saveexec_b64 s[2:3], s[26:27]
	s_cbranch_execz .LBB0_6
; %bb.5:                                ;   in Loop: Header=BB0_2 Depth=1
	v_cvt_f32_u32_e32 v1, s24
	s_sub_i32 s26, 0, s24
	v_rcp_iflag_f32_e32 v1, v1
	s_nop 0
	v_mul_f32_e32 v1, 0x4f7ffffe, v1
	v_cvt_u32_f32_e32 v1, v1
	v_mul_lo_u32 v4, s26, v1
	v_mul_hi_u32 v4, v1, v4
	v_add_u32_e32 v1, v1, v4
	v_mul_hi_u32 v1, v12, v1
	v_mul_lo_u32 v4, v1, s24
	v_sub_u32_e32 v4, v12, v4
	v_add_u32_e32 v5, 1, v1
	v_subrev_u32_e32 v7, s24, v4
	v_cmp_le_u32_e32 vcc, s24, v4
	s_nop 1
	v_cndmask_b32_e32 v4, v4, v7, vcc
	v_cndmask_b32_e32 v1, v1, v5, vcc
	v_add_u32_e32 v5, 1, v1
	v_cmp_le_u32_e32 vcc, s24, v4
	s_nop 1
	v_cndmask_b32_e32 v4, v1, v5, vcc
	v_mov_b32_e32 v5, v6
.LBB0_6:                                ;   in Loop: Header=BB0_2 Depth=1
	s_or_b64 exec, exec, s[2:3]
	v_mad_u64_u32 v[14:15], s[2:3], v4, s24, 0
	s_load_dwordx2 s[2:3], s[18:19], 0x0
	s_add_u32 s22, s22, 1
	v_mul_lo_u32 v1, v5, s24
	v_mul_lo_u32 v7, v4, s25
	s_load_dwordx2 s[24:25], s[16:17], 0x0
	s_addc_u32 s23, s23, 0
	v_add3_u32 v1, v15, v7, v1
	v_sub_co_u32_e32 v7, vcc, v12, v14
	s_add_u32 s16, s16, 8
	s_nop 0
	v_subb_co_u32_e32 v1, vcc, v13, v1, vcc
	s_addc_u32 s17, s17, 0
	s_waitcnt lgkmcnt(0)
	v_mul_lo_u32 v9, s2, v1
	v_mul_lo_u32 v12, s3, v7
	v_mad_u64_u32 v[10:11], s[2:3], s2, v7, v[10:11]
	s_add_u32 s18, s18, 8
	v_add3_u32 v11, v12, v11, v9
	s_addc_u32 s19, s19, 0
	v_mov_b64_e32 v[12:13], s[10:11]
	v_mul_lo_u32 v1, s24, v1
	v_mul_lo_u32 v9, s25, v7
	v_mad_u64_u32 v[2:3], s[2:3], s24, v7, v[2:3]
	s_add_u32 s20, s20, 8
	v_cmp_ge_u64_e32 vcc, s[22:23], v[12:13]
	v_add3_u32 v3, v9, v3, v1
	s_addc_u32 s21, s21, 0
	s_cbranch_vccnz .LBB0_8
; %bb.7:                                ;   in Loop: Header=BB0_2 Depth=1
	v_mov_b64_e32 v[12:13], v[4:5]
	s_branch .LBB0_2
.LBB0_8:
	s_load_dwordx2 s[0:1], s[0:1], 0x28
	s_lshl_b64 s[16:17], s[10:11], 3
	s_add_u32 s2, s14, s16
	s_addc_u32 s3, s15, s17
                                        ; implicit-def: $sgpr14
                                        ; implicit-def: $sgpr15
                                        ; implicit-def: $vgpr9
	s_waitcnt lgkmcnt(0)
	v_cmp_gt_u64_e32 vcc, s[0:1], v[4:5]
	v_cmp_le_u64_e64 s[0:1], s[0:1], v[4:5]
	s_and_saveexec_b64 s[10:11], s[0:1]
	s_xor_b64 s[0:1], exec, s[10:11]
; %bb.9:
	s_mov_b32 s10, 0x6666667
	v_mul_hi_u32 v1, v0, s10
	v_mul_u32_u24_e32 v1, 40, v1
	v_sub_u32_e32 v9, v0, v1
	s_mov_b32 s15, 0
	s_mov_b32 s14, 0
                                        ; implicit-def: $vgpr0
                                        ; implicit-def: $vgpr10_vgpr11
; %bb.10:
	s_or_saveexec_b64 s[10:11], s[0:1]
	s_load_dwordx2 s[2:3], s[2:3], 0x0
	v_mov_b32_e32 v12, s15
	v_mov_b32_e32 v6, s14
	;; [unrolled: 1-line block ×5, first 2 shown]
                                        ; implicit-def: $vgpr23
                                        ; implicit-def: $vgpr16
                                        ; implicit-def: $vgpr26
                                        ; implicit-def: $vgpr18
                                        ; implicit-def: $vgpr27
                                        ; implicit-def: $vgpr24
                                        ; implicit-def: $vgpr7
                                        ; implicit-def: $vgpr21
                                        ; implicit-def: $vgpr28
                                        ; implicit-def: $vgpr20
                                        ; implicit-def: $vgpr29
                                        ; implicit-def: $vgpr17
                                        ; implicit-def: $vgpr30
                                        ; implicit-def: $vgpr22
                                        ; implicit-def: $vgpr33
                                        ; implicit-def: $vgpr19
                                        ; implicit-def: $vgpr14
                                        ; implicit-def: $vgpr25
                                        ; implicit-def: $vgpr32
                                        ; implicit-def: $vgpr31
	s_xor_b64 exec, exec, s[10:11]
	s_cbranch_execz .LBB0_14
; %bb.11:
	s_add_u32 s0, s12, s16
	s_addc_u32 s1, s13, s17
	s_load_dwordx2 s[0:1], s[0:1], 0x0
	s_mov_b32 s12, 0x6666667
                                        ; implicit-def: $vgpr31
                                        ; implicit-def: $vgpr32
                                        ; implicit-def: $vgpr25
                                        ; implicit-def: $vgpr14
	s_waitcnt lgkmcnt(0)
	v_mul_lo_u32 v1, s1, v4
	v_mul_lo_u32 v9, s0, v5
	v_mad_u64_u32 v[6:7], s[0:1], s0, v4, 0
	v_add3_u32 v7, v7, v9, v1
	v_mul_hi_u32 v1, v0, s12
	v_mul_u32_u24_e32 v1, 40, v1
	v_sub_u32_e32 v9, v0, v1
	v_lshl_add_u64 v[0:1], v[6:7], 2, s[4:5]
	v_lshl_add_u64 v[6:7], v[10:11], 2, v[0:1]
	v_lshlrev_b32_e32 v0, 2, v9
	v_mov_b32_e32 v1, 0
	v_lshl_add_u64 v[6:7], v[6:7], 0, v[0:1]
	global_load_dword v16, v[6:7], off
	global_load_dword v19, v[6:7], off offset:1360
	global_load_dword v21, v[6:7], off offset:1200
	;; [unrolled: 1-line block ×7, first 2 shown]
	v_cmp_gt_u32_e64 s[0:1], 20, v9
	v_mov_b32_e32 v13, v1
	v_mov_b32_e32 v15, v1
	;; [unrolled: 1-line block ×3, first 2 shown]
	s_and_saveexec_b64 s[4:5], s[0:1]
	s_cbranch_execz .LBB0_13
; %bb.12:
	global_load_dword v15, v[6:7], off offset:320
	global_load_dword v1, v[6:7], off offset:720
	global_load_dword v25, v[6:7], off offset:1120
	global_load_dword v31, v[6:7], off offset:1520
	s_waitcnt vmcnt(3)
	v_lshrrev_b32_e32 v12, 16, v15
	s_waitcnt vmcnt(2)
	v_lshrrev_b32_e32 v13, 16, v1
	s_waitcnt vmcnt(1)
	v_lshrrev_b32_e32 v14, 16, v25
	s_waitcnt vmcnt(0)
	v_lshrrev_b32_e32 v32, 16, v31
.LBB0_13:
	s_or_b64 exec, exec, s[4:5]
	s_waitcnt vmcnt(7)
	v_lshrrev_b32_e32 v23, 16, v16
	s_waitcnt vmcnt(1)
	v_lshrrev_b32_e32 v26, 16, v18
	v_lshrrev_b32_e32 v27, 16, v24
	;; [unrolled: 1-line block ×3, first 2 shown]
	s_waitcnt vmcnt(0)
	v_lshrrev_b32_e32 v28, 16, v20
	v_lshrrev_b32_e32 v29, 16, v17
	;; [unrolled: 1-line block ×4, first 2 shown]
	v_mov_b32_e32 v6, v9
.LBB0_14:
	s_or_b64 exec, exec, s[10:11]
	s_mov_b32 s0, 0xaaaaaaab
	v_mul_hi_u32 v0, v8, s0
	v_lshrrev_b32_e32 v0, 1, v0
	v_lshl_add_u32 v0, v0, 1, v0
	v_sub_u32_e32 v0, v8, v0
	v_mul_u32_u24_e32 v34, 0x190, v0
	v_sub_f16_e32 v8, v16, v24
	v_sub_f16_e32 v0, v18, v21
	v_fma_f16 v10, v16, 2.0, -v8
	v_sub_f16_e32 v11, v26, v7
	v_fma_f16 v7, v18, 2.0, -v0
	v_sub_f16_e32 v7, v10, v7
	v_sub_f16_e32 v21, v8, v11
	v_fma_f16 v18, v10, 2.0, -v7
	v_fma_f16 v35, v8, 2.0, -v21
	v_sub_f16_e32 v10, v20, v22
	v_sub_f16_e32 v8, v17, v19
	v_fma_f16 v20, v20, 2.0, -v10
	;; [unrolled: 4-line block ×3, first 2 shown]
	v_sub_f16_e32 v20, v10, v16
	v_fma_f16 v36, v10, 2.0, -v20
	v_lshl_add_u32 v10, v9, 3, 0
	v_sub_f16_e32 v24, v13, v32
	v_lshl_add_u32 v32, v34, 1, v10
	v_pack_b32_f16 v7, v7, v21
	v_pack_b32_f16 v18, v18, v35
	ds_write2_b32 v32, v18, v7 offset1:1
	v_pack_b32_f16 v7, v17, v20
	v_pack_b32_f16 v17, v19, v36
	ds_write2_b32 v32, v17, v7 offset0:80 offset1:81
	v_add_u32_e32 v7, 0x50, v9
	v_sub_f16_e32 v22, v1, v31
	v_add_u32_e32 v33, 0x140, v32
	v_cmp_gt_u32_e64 s[0:1], 20, v9
	v_lshlrev_b32_e32 v31, 3, v7
	v_lshlrev_b32_e32 v7, 1, v34
	s_and_saveexec_b64 s[4:5], s[0:1]
	s_cbranch_execz .LBB0_16
; %bb.15:
	v_sub_f16_e32 v17, v15, v25
	v_fma_f16 v15, v15, 2.0, -v17
	v_fma_f16 v1, v1, 2.0, -v22
	v_sub_f16_e32 v18, v17, v24
	v_sub_f16_e32 v1, v15, v1
	v_fma_f16 v19, v17, 2.0, -v18
	v_fma_f16 v15, v15, 2.0, -v1
	v_add3_u32 v17, 0, v31, v7
	v_pack_b32_f16 v15, v15, v19
	v_pack_b32_f16 v1, v1, v18
	ds_write2_b32 v17, v15, v1 offset1:1
.LBB0_16:
	s_or_b64 exec, exec, s[4:5]
	v_sub_f16_e32 v1, v23, v27
	v_fma_f16 v15, v23, 2.0, -v1
	v_fma_f16 v11, v26, 2.0, -v11
	v_add_f16_e32 v26, v1, v0
	v_sub_f16_e32 v0, v28, v30
	v_sub_f16_e32 v23, v15, v11
	v_fma_f16 v27, v1, 2.0, -v26
	v_fma_f16 v1, v28, 2.0, -v0
	;; [unrolled: 1-line block ×3, first 2 shown]
	v_add_f16_e32 v30, v0, v8
	v_sub_f16_e32 v28, v1, v11
	v_fma_f16 v34, v0, 2.0, -v30
	v_lshlrev_b32_e32 v0, 1, v9
	v_fma_f16 v29, v1, 2.0, -v28
	v_add3_u32 v1, 0, v7, v0
	v_mul_i32_i24_e32 v0, -6, v9
	v_fma_f16 v25, v15, 2.0, -v23
	s_waitcnt lgkmcnt(0)
	s_barrier
	v_add3_u32 v0, v10, v0, v7
	ds_read_u16 v8, v1
	ds_read_u16 v21, v0 offset:80
	ds_read_u16 v20, v0 offset:160
	;; [unrolled: 1-line block ×9, first 2 shown]
	v_pack_b32_f16 v25, v25, v27
	v_pack_b32_f16 v23, v23, v26
	s_waitcnt lgkmcnt(0)
	s_barrier
	ds_write2_b32 v32, v25, v23 offset1:1
	v_pack_b32_f16 v23, v29, v34
	v_pack_b32_f16 v25, v28, v30
	ds_write2_b32 v33, v23, v25 offset1:1
	s_and_saveexec_b64 s[4:5], s[0:1]
	s_cbranch_execz .LBB0_18
; %bb.17:
	v_sub_f16_e32 v14, v12, v14
	v_fma_f16 v12, v12, 2.0, -v14
	v_fma_f16 v13, v13, 2.0, -v24
	v_sub_f16_e32 v13, v12, v13
	v_add_f16_e32 v22, v14, v22
	v_fma_f16 v12, v12, 2.0, -v13
	v_fma_f16 v14, v14, 2.0, -v22
	v_add3_u32 v23, 0, v31, v7
	v_pack_b32_f16 v12, v12, v14
	v_pack_b32_f16 v13, v13, v22
	ds_write2_b32 v23, v12, v13 offset1:1
.LBB0_18:
	s_or_b64 exec, exec, s[4:5]
	v_and_b32_e32 v12, 3, v9
	v_mul_u32_u24_e32 v13, 9, v12
	v_lshlrev_b32_e32 v13, 2, v13
	s_waitcnt lgkmcnt(0)
	s_barrier
	global_load_dwordx4 v[22:25], v13, s[8:9]
	global_load_dwordx4 v[26:29], v13, s[8:9] offset:16
	global_load_dword v14, v13, s[8:9] offset:32
	ds_read_u16 v13, v1
	ds_read_u16 v30, v0 offset:80
	ds_read_u16 v31, v0 offset:160
	;; [unrolled: 1-line block ×9, first 2 shown]
	s_movk_i32 s0, 0x3b9c
	s_mov_b32 s5, 0xbb9c
	s_movk_i32 s1, 0x38b4
	s_mov_b32 s10, 0xb8b4
	s_movk_i32 s4, 0x34f2
	s_movk_i32 s11, 0x3a79
	s_waitcnt lgkmcnt(0)
	s_barrier
	s_waitcnt vmcnt(2)
	v_mul_f16_sdwa v41, v31, v23 dst_sel:DWORD dst_unused:UNUSED_PAD src0_sel:DWORD src1_sel:WORD_1
	v_mul_f16_sdwa v45, v33, v25 dst_sel:DWORD dst_unused:UNUSED_PAD src0_sel:DWORD src1_sel:WORD_1
	s_waitcnt vmcnt(1)
	v_mul_f16_sdwa v49, v35, v27 dst_sel:DWORD dst_unused:UNUSED_PAD src0_sel:DWORD src1_sel:WORD_1
	v_mul_f16_sdwa v53, v37, v29 dst_sel:DWORD dst_unused:UNUSED_PAD src0_sel:DWORD src1_sel:WORD_1
	v_mul_f16_sdwa v42, v20, v23 dst_sel:DWORD dst_unused:UNUSED_PAD src0_sel:DWORD src1_sel:WORD_1
	v_mul_f16_sdwa v46, v18, v25 dst_sel:DWORD dst_unused:UNUSED_PAD src0_sel:DWORD src1_sel:WORD_1
	v_mul_f16_sdwa v50, v16, v27 dst_sel:DWORD dst_unused:UNUSED_PAD src0_sel:DWORD src1_sel:WORD_1
	v_mul_f16_sdwa v51, v36, v28 dst_sel:DWORD dst_unused:UNUSED_PAD src0_sel:DWORD src1_sel:WORD_1
	v_mul_f16_sdwa v52, v15, v28 dst_sel:DWORD dst_unused:UNUSED_PAD src0_sel:DWORD src1_sel:WORD_1
	v_mul_f16_sdwa v54, v11, v29 dst_sel:DWORD dst_unused:UNUSED_PAD src0_sel:DWORD src1_sel:WORD_1
	v_fma_f16 v20, v20, v23, -v41
	v_fma_f16 v18, v18, v25, -v45
	;; [unrolled: 1-line block ×4, first 2 shown]
	v_mul_f16_sdwa v39, v30, v22 dst_sel:DWORD dst_unused:UNUSED_PAD src0_sel:DWORD src1_sel:WORD_1
	v_mul_f16_sdwa v40, v21, v22 dst_sel:DWORD dst_unused:UNUSED_PAD src0_sel:DWORD src1_sel:WORD_1
	;; [unrolled: 1-line block ×6, first 2 shown]
	s_waitcnt vmcnt(0)
	v_mul_f16_sdwa v55, v38, v14 dst_sel:DWORD dst_unused:UNUSED_PAD src0_sel:DWORD src1_sel:WORD_1
	v_mul_f16_sdwa v56, v10, v14 dst_sel:DWORD dst_unused:UNUSED_PAD src0_sel:DWORD src1_sel:WORD_1
	v_fma_f16 v23, v31, v23, v42
	v_fma_f16 v25, v33, v25, v46
	;; [unrolled: 1-line block ×3, first 2 shown]
	v_fma_f16 v15, v15, v28, -v51
	v_fma_f16 v28, v36, v28, v52
	v_fma_f16 v29, v37, v29, v54
	v_add_f16_e32 v31, v18, v16
	v_add_f16_e32 v36, v20, v11
	v_fma_f16 v21, v21, v22, -v39
	v_fma_f16 v22, v30, v22, v40
	v_fma_f16 v19, v19, v24, -v43
	v_fma_f16 v24, v32, v24, v44
	;; [unrolled: 2-line block ×4, first 2 shown]
	v_add_f16_e32 v30, v8, v20
	v_sub_f16_e32 v32, v23, v29
	v_sub_f16_e32 v33, v25, v27
	;; [unrolled: 1-line block ×6, first 2 shown]
	v_fma_f16 v31, v31, -0.5, v8
	v_fma_f16 v8, v36, -0.5, v8
	v_add_f16_e32 v34, v34, v35
	v_add_f16_e32 v35, v37, v38
	v_fma_f16 v37, v32, s0, v31
	v_fma_f16 v31, v32, s5, v31
	;; [unrolled: 1-line block ×4, first 2 shown]
	v_add_f16_e32 v30, v30, v18
	v_fma_f16 v37, v33, s1, v37
	v_fma_f16 v31, v33, s10, v31
	;; [unrolled: 1-line block ×4, first 2 shown]
	v_add_f16_e32 v30, v30, v16
	v_fma_f16 v33, v35, s4, v33
	v_fma_f16 v8, v35, s4, v8
	v_add_f16_e32 v35, v25, v27
	v_add_f16_e32 v39, v13, v23
	;; [unrolled: 1-line block ×3, first 2 shown]
	v_fma_f16 v35, v35, -0.5, v13
	v_sub_f16_e32 v11, v20, v11
	v_add_f16_e32 v36, v39, v25
	v_fma_f16 v20, v11, s5, v35
	v_sub_f16_e32 v16, v18, v16
	v_fma_f16 v32, v34, s4, v37
	v_fma_f16 v31, v34, s4, v31
	v_add_f16_e32 v34, v36, v27
	v_fma_f16 v18, v16, s10, v20
	v_sub_f16_e32 v20, v23, v25
	v_sub_f16_e32 v36, v29, v27
	v_fma_f16 v35, v11, s0, v35
	v_add_f16_e32 v20, v20, v36
	v_fma_f16 v35, v16, s1, v35
	v_fma_f16 v18, v20, s4, v18
	;; [unrolled: 1-line block ×3, first 2 shown]
	v_add_f16_e32 v35, v23, v29
	v_fma_f16 v13, v35, -0.5, v13
	v_fma_f16 v35, v16, s0, v13
	v_sub_f16_e32 v23, v25, v23
	v_sub_f16_e32 v25, v27, v29
	v_fma_f16 v13, v16, s5, v13
	v_fma_f16 v35, v11, s10, v35
	v_add_f16_e32 v23, v23, v25
	v_fma_f16 v11, v11, s1, v13
	v_add_f16_e32 v16, v17, v15
	v_fma_f16 v25, v23, s4, v35
	v_fma_f16 v11, v23, s4, v11
	v_fma_f16 v16, v16, -0.5, v21
	v_sub_f16_e32 v23, v24, v14
	v_add_f16_e32 v34, v34, v29
	v_fma_f16 v27, v23, s0, v16
	v_sub_f16_e32 v29, v26, v28
	v_sub_f16_e32 v35, v19, v17
	;; [unrolled: 1-line block ×3, first 2 shown]
	v_fma_f16 v16, v23, s5, v16
	v_fma_f16 v27, v29, s1, v27
	v_add_f16_e32 v35, v35, v36
	v_fma_f16 v16, v29, s10, v16
	v_add_f16_e32 v13, v21, v19
	v_fma_f16 v27, v35, s4, v27
	v_fma_f16 v16, v35, s4, v16
	v_add_f16_e32 v35, v19, v10
	v_add_f16_e32 v13, v13, v17
	v_fma_f16 v21, v35, -0.5, v21
	v_add_f16_e32 v13, v13, v15
	v_fma_f16 v35, v29, s5, v21
	v_fma_f16 v21, v29, s0, v21
	v_add_f16_e32 v29, v26, v28
	v_add_f16_e32 v13, v13, v10
	v_sub_f16_e32 v36, v17, v19
	v_sub_f16_e32 v37, v15, v10
	v_fma_f16 v29, v29, -0.5, v22
	v_sub_f16_e32 v10, v19, v10
	v_fma_f16 v35, v23, s1, v35
	v_add_f16_e32 v36, v36, v37
	v_fma_f16 v21, v23, s10, v21
	v_fma_f16 v19, v10, s5, v29
	v_sub_f16_e32 v15, v17, v15
	v_fma_f16 v35, v36, s4, v35
	v_fma_f16 v21, v36, s4, v21
	;; [unrolled: 1-line block ×3, first 2 shown]
	v_sub_f16_e32 v19, v24, v26
	v_sub_f16_e32 v36, v14, v28
	v_fma_f16 v29, v10, s0, v29
	v_add_f16_e32 v23, v22, v24
	v_add_f16_e32 v19, v19, v36
	v_fma_f16 v29, v15, s1, v29
	v_add_f16_e32 v23, v23, v26
	v_fma_f16 v17, v19, s4, v17
	v_fma_f16 v19, v19, s4, v29
	v_add_f16_e32 v29, v24, v14
	v_add_f16_e32 v23, v23, v28
	v_fma_f16 v22, v29, -0.5, v22
	v_add_f16_e32 v23, v23, v14
	v_fma_f16 v29, v15, s0, v22
	v_sub_f16_e32 v24, v26, v24
	v_sub_f16_e32 v14, v28, v14
	v_fma_f16 v29, v10, s10, v29
	v_add_f16_e32 v14, v24, v14
	v_fma_f16 v15, v15, s5, v22
	v_fma_f16 v24, v14, s4, v29
	v_fma_f16 v10, v10, s1, v15
	v_fma_f16 v10, v14, s4, v10
	v_mul_f16_e32 v26, 0x3b9c, v24
	v_mul_f16_e32 v29, 0x34f2, v21
	v_fma_f16 v26, v35, s4, v26
	v_fma_f16 v29, v10, s0, -v29
	v_mul_f16_e32 v35, 0xbb9c, v35
	v_mul_f16_e32 v10, 0x34f2, v10
	v_fma_f16 v24, v24, s4, v35
	v_fma_f16 v10, v21, s5, -v10
	v_add_f16_e32 v35, v25, v24
	v_add_f16_e32 v21, v11, v10
	v_sub_f16_e32 v24, v25, v24
	v_sub_f16_e32 v25, v11, v10
	v_lshrrev_b32_e32 v10, 2, v9
	v_mul_u32_u24_e32 v10, 40, v10
	v_mul_f16_e32 v15, 0x38b4, v17
	v_mul_f16_e32 v37, 0x3a79, v16
	v_or_b32_e32 v10, v10, v12
	v_fma_f16 v15, v27, s11, v15
	v_fma_f16 v37, v19, s1, -v37
	v_mul_f16_e32 v27, 0xb8b4, v27
	v_mul_f16_e32 v19, 0x3a79, v19
	v_lshlrev_b32_e32 v10, 1, v10
	v_add_f16_e32 v14, v30, v13
	v_add_f16_e32 v22, v32, v15
	;; [unrolled: 1-line block ×3, first 2 shown]
	v_fma_f16 v17, v17, s11, v27
	v_fma_f16 v16, v16, s10, -v19
	v_sub_f16_e32 v13, v30, v13
	v_sub_f16_e32 v15, v32, v15
	v_sub_f16_e32 v8, v8, v29
	v_add3_u32 v30, 0, v10, v7
	v_add_f16_e32 v28, v33, v26
	v_add_f16_e32 v38, v31, v37
	;; [unrolled: 1-line block ×4, first 2 shown]
	v_sub_f16_e32 v26, v33, v26
	v_sub_f16_e32 v29, v31, v37
	;; [unrolled: 1-line block ×4, first 2 shown]
	ds_write_b16 v30, v14
	ds_write_b16 v30, v22 offset:8
	ds_write_b16 v30, v28 offset:16
	;; [unrolled: 1-line block ×9, first 2 shown]
	s_waitcnt lgkmcnt(0)
	s_barrier
	ds_read_u16 v7, v1
	ds_read_u16 v8, v0 offset:80
	ds_read_u16 v11, v0 offset:160
	;; [unrolled: 1-line block ×9, first 2 shown]
	v_add_f16_e32 v39, v34, v23
	v_sub_f16_e32 v23, v34, v23
	s_waitcnt lgkmcnt(0)
	s_barrier
	ds_write_b16 v30, v39
	ds_write_b16 v30, v27 offset:8
	ds_write_b16 v30, v35 offset:16
	;; [unrolled: 1-line block ×9, first 2 shown]
	s_waitcnt lgkmcnt(0)
	s_barrier
	s_and_saveexec_b64 s[12:13], vcc
	s_cbranch_execz .LBB0_20
; %bb.19:
	v_mul_u32_u24_e32 v9, 9, v9
	v_lshlrev_b32_e32 v9, 2, v9
	global_load_dwordx4 v[18:21], v9, s[8:9] offset:144
	global_load_dwordx4 v[22:25], v9, s[8:9] offset:160
	global_load_dword v26, v9, s[8:9] offset:176
	ds_read_u16 v1, v1
	ds_read_u16 v28, v0 offset:560
	ds_read_u16 v29, v0 offset:480
	;; [unrolled: 1-line block ×9, first 2 shown]
	v_mul_lo_u32 v9, s3, v4
	v_mul_lo_u32 v27, s2, v5
	v_mad_u64_u32 v[4:5], s[2:3], s2, v4, 0
	v_add3_u32 v5, v5, v27, v9
	s_waitcnt vmcnt(2)
	v_mul_f16_sdwa v9, v11, v19 dst_sel:DWORD dst_unused:UNUSED_PAD src0_sel:DWORD src1_sel:WORD_1
	v_mul_f16_sdwa v27, v15, v21 dst_sel:DWORD dst_unused:UNUSED_PAD src0_sel:DWORD src1_sel:WORD_1
	s_waitcnt vmcnt(1)
	v_mul_f16_sdwa v36, v17, v25 dst_sel:DWORD dst_unused:UNUSED_PAD src0_sel:DWORD src1_sel:WORD_1
	v_mul_f16_sdwa v37, v16, v23 dst_sel:DWORD dst_unused:UNUSED_PAD src0_sel:DWORD src1_sel:WORD_1
	s_waitcnt lgkmcnt(5)
	v_mul_f16_sdwa v38, v31, v21 dst_sel:DWORD dst_unused:UNUSED_PAD src0_sel:DWORD src1_sel:WORD_1
	v_mul_f16_sdwa v39, v29, v23 dst_sel:DWORD dst_unused:UNUSED_PAD src0_sel:DWORD src1_sel:WORD_1
	s_waitcnt lgkmcnt(1)
	v_mul_f16_sdwa v40, v35, v19 dst_sel:DWORD dst_unused:UNUSED_PAD src0_sel:DWORD src1_sel:WORD_1
	v_mul_f16_sdwa v41, v33, v25 dst_sel:DWORD dst_unused:UNUSED_PAD src0_sel:DWORD src1_sel:WORD_1
	;; [unrolled: 1-line block ×4, first 2 shown]
	s_waitcnt vmcnt(0)
	v_mul_f16_sdwa v44, v34, v26 dst_sel:DWORD dst_unused:UNUSED_PAD src0_sel:DWORD src1_sel:WORD_1
	v_mul_f16_sdwa v45, v28, v24 dst_sel:DWORD dst_unused:UNUSED_PAD src0_sel:DWORD src1_sel:WORD_1
	s_waitcnt lgkmcnt(0)
	v_mul_f16_sdwa v46, v0, v18 dst_sel:DWORD dst_unused:UNUSED_PAD src0_sel:DWORD src1_sel:WORD_1
	v_mul_f16_sdwa v47, v10, v20 dst_sel:DWORD dst_unused:UNUSED_PAD src0_sel:DWORD src1_sel:WORD_1
	;; [unrolled: 1-line block ×6, first 2 shown]
	v_fma_f16 v9, v35, v19, v9
	v_fma_f16 v27, v31, v21, v27
	;; [unrolled: 1-line block ×4, first 2 shown]
	v_fma_f16 v15, v15, v21, -v38
	v_fma_f16 v16, v16, v23, -v39
	;; [unrolled: 1-line block ×9, first 2 shown]
	v_fma_f16 v19, v20, v32, v47
	v_fma_f16 v20, v26, v34, v48
	;; [unrolled: 1-line block ×5, first 2 shown]
	v_sub_f16_e32 v18, v9, v27
	v_sub_f16_e32 v23, v31, v29
	v_add_f16_e32 v26, v27, v29
	v_sub_f16_e32 v25, v11, v17
	v_sub_f16_e32 v28, v10, v12
	;; [unrolled: 1-line block ×5, first 2 shown]
	v_add_f16_e32 v18, v18, v23
	v_fma_f16 v23, v26, -0.5, v1
	v_sub_f16_e32 v24, v15, v16
	v_add_f16_e32 v32, v12, v13
	v_add_f16_e32 v39, v21, v22
	;; [unrolled: 1-line block ×4, first 2 shown]
	v_fma_f16 v36, v25, s0, v23
	v_add_f16_e32 v43, v9, v31
	v_sub_f16_e32 v48, v21, v19
	v_sub_f16_e32 v49, v22, v20
	v_fma_f16 v23, v25, s5, v23
	v_sub_f16_e32 v38, v10, v14
	v_sub_f16_e32 v40, v27, v9
	;; [unrolled: 1-line block ×3, first 2 shown]
	v_fma_f16 v28, v32, -0.5, v8
	v_fma_f16 v32, v39, -0.5, v0
	v_fma_f16 v36, v24, s1, v36
	v_fma_f16 v43, v43, -0.5, v1
	v_add_f16_e32 v48, v48, v49
	v_add_f16_e32 v49, v19, v20
	v_fma_f16 v23, v24, s10, v23
	v_add_f16_e32 v1, v9, v1
	v_sub_f16_e32 v37, v12, v13
	v_add_f16_e32 v35, v40, v41
	v_fma_f16 v40, v38, s0, v32
	v_fma_f16 v36, v18, s4, v36
	v_fma_f16 v49, v49, -0.5, v0
	v_fma_f16 v18, v18, s4, v23
	v_fma_f16 v23, v38, s5, v32
	v_add_f16_e32 v1, v27, v1
	v_add_f16_e32 v0, v19, v0
	v_fma_f16 v40, v37, s1, v40
	v_fma_f16 v23, v37, s10, v23
	v_add_f16_e32 v1, v29, v1
	v_add_f16_e32 v0, v21, v0
	;; [unrolled: 4-line block ×3, first 2 shown]
	v_sub_f16_e32 v9, v9, v31
	v_sub_f16_e32 v30, v15, v11
	;; [unrolled: 1-line block ×7, first 2 shown]
	v_add_f16_e32 v0, v20, v0
	v_sub_f16_e32 v20, v11, v15
	v_sub_f16_e32 v21, v17, v16
	v_add_f16_e32 v30, v30, v31
	v_add_f16_e32 v31, v11, v17
	v_fma_f16 v44, v24, s5, v43
	v_add_f16_e32 v45, v45, v46
	v_add_f16_e32 v46, v10, v14
	v_fma_f16 v43, v24, s0, v43
	v_add_f16_e32 v20, v20, v21
	v_add_f16_e32 v21, v15, v16
	v_sub_f16_e32 v27, v27, v29
	v_fma_f16 v31, v31, -0.5, v7
	v_fma_f16 v44, v25, s1, v44
	v_fma_f16 v46, v46, -0.5, v8
	v_fma_f16 v43, v25, s10, v43
	v_fma_f16 v24, v33, s0, v28
	v_fma_f16 v21, v21, -0.5, v7
	v_fma_f16 v32, v27, s0, v31
	v_fma_f16 v31, v27, s5, v31
	v_add_f16_e32 v7, v7, v11
	v_add_f16_e32 v8, v10, v8
	v_fma_f16 v44, v35, s4, v44
	v_fma_f16 v47, v34, s0, v46
	;; [unrolled: 1-line block ×10, first 2 shown]
	v_add_f16_e32 v7, v7, v15
	v_add_f16_e32 v8, v12, v8
	v_fma_f16 v47, v33, s10, v47
	v_fma_f16 v50, v37, s5, v49
	;; [unrolled: 1-line block ×7, first 2 shown]
	v_add_f16_e32 v7, v7, v16
	v_add_f16_e32 v8, v13, v8
	v_fma_f16 v39, v33, s5, v28
	v_fma_f16 v47, v45, s4, v47
	;; [unrolled: 1-line block ×5, first 2 shown]
	v_mul_f16_e32 v25, 0xb8b4, v24
	v_sub_f16_e32 v19, v1, v0
	v_fma_f16 v22, v20, s4, v22
	v_fma_f16 v9, v20, s4, v9
	v_mul_f16_e32 v20, 0x38b4, v23
	v_add_f16_e32 v7, v17, v7
	v_add_f16_e32 v8, v14, v8
	;; [unrolled: 1-line block ×3, first 2 shown]
	v_lshl_add_u64 v[0:1], v[4:5], 2, s[6:7]
	v_fma_f16 v39, v34, s10, v39
	v_fma_f16 v50, v48, s4, v50
	v_mul_f16_e32 v46, 0xbb9c, v45
	v_fma_f16 v25, v23, s11, v25
	v_fma_f16 v32, v30, s4, v32
	;; [unrolled: 1-line block ×3, first 2 shown]
	v_mul_f16_e32 v31, 0x3b9c, v43
	v_fma_f16 v20, v24, s11, v20
	v_sub_f16_e32 v10, v7, v8
	v_add_f16_e32 v8, v7, v8
	v_mov_b32_e32 v7, 0
	v_lshl_add_u64 v[0:1], v[2:3], 2, v[0:1]
	v_fma_f16 v39, v26, s4, v39
	v_mul_f16_e32 v51, 0x34f2, v50
	v_fma_f16 v46, v43, s4, v46
	v_mul_f16_e32 v33, 0x34f2, v47
	v_fma_f16 v31, v45, s4, v31
	v_sub_f16_e32 v21, v9, v20
	v_add_f16_e32 v14, v18, v25
	v_add_f16_e32 v9, v9, v20
	v_lshl_add_u64 v[0:1], v[6:7], 2, v[0:1]
	v_pack_b32_f16 v2, v8, v15
	v_mul_f16_e32 v41, 0x3a79, v40
	v_fma_f16 v51, v47, s5, -v51
	v_sub_f16_e32 v26, v18, v25
	v_mul_f16_e32 v28, 0x3a79, v39
	v_fma_f16 v33, v50, s0, -v33
	v_add_f16_e32 v13, v35, v46
	v_add_f16_e32 v18, v30, v31
	global_store_dword v[0:1], v2, off
	v_pack_b32_f16 v2, v9, v14
	v_fma_f16 v41, v39, s10, -v41
	v_fma_f16 v28, v40, s1, -v28
	v_add_f16_e32 v12, v44, v51
	v_add_f16_e32 v17, v32, v33
	global_store_dword v[0:1], v2, off offset:160
	v_pack_b32_f16 v2, v18, v13
	v_add_f16_e32 v11, v36, v41
	v_add_f16_e32 v16, v22, v28
	global_store_dword v[0:1], v2, off offset:320
	v_pack_b32_f16 v2, v17, v12
	global_store_dword v[0:1], v2, off offset:480
	v_pack_b32_f16 v2, v16, v11
	;; [unrolled: 2-line block ×3, first 2 shown]
	v_sub_f16_e32 v48, v35, v46
	v_sub_f16_e32 v37, v30, v31
	global_store_dword v[0:1], v2, off offset:800
	v_pack_b32_f16 v2, v21, v26
	v_sub_f16_e32 v52, v44, v51
	v_sub_f16_e32 v34, v32, v33
	global_store_dword v[0:1], v2, off offset:960
	v_pack_b32_f16 v2, v37, v48
	;; [unrolled: 4-line block ×3, first 2 shown]
	global_store_dword v[0:1], v2, off offset:1280
	v_pack_b32_f16 v2, v29, v42
	global_store_dword v[0:1], v2, off offset:1440
.LBB0_20:
	s_endpgm
	.section	.rodata,"a",@progbits
	.p2align	6, 0x0
	.amdhsa_kernel fft_rtc_fwd_len400_factors_4_10_10_wgs_120_tpt_40_halfLds_half_op_CI_CI_unitstride_sbrr_dirReg
		.amdhsa_group_segment_fixed_size 0
		.amdhsa_private_segment_fixed_size 0
		.amdhsa_kernarg_size 104
		.amdhsa_user_sgpr_count 2
		.amdhsa_user_sgpr_dispatch_ptr 0
		.amdhsa_user_sgpr_queue_ptr 0
		.amdhsa_user_sgpr_kernarg_segment_ptr 1
		.amdhsa_user_sgpr_dispatch_id 0
		.amdhsa_user_sgpr_kernarg_preload_length 0
		.amdhsa_user_sgpr_kernarg_preload_offset 0
		.amdhsa_user_sgpr_private_segment_size 0
		.amdhsa_uses_dynamic_stack 0
		.amdhsa_enable_private_segment 0
		.amdhsa_system_sgpr_workgroup_id_x 1
		.amdhsa_system_sgpr_workgroup_id_y 0
		.amdhsa_system_sgpr_workgroup_id_z 0
		.amdhsa_system_sgpr_workgroup_info 0
		.amdhsa_system_vgpr_workitem_id 0
		.amdhsa_next_free_vgpr 57
		.amdhsa_next_free_sgpr 28
		.amdhsa_accum_offset 60
		.amdhsa_reserve_vcc 1
		.amdhsa_float_round_mode_32 0
		.amdhsa_float_round_mode_16_64 0
		.amdhsa_float_denorm_mode_32 3
		.amdhsa_float_denorm_mode_16_64 3
		.amdhsa_dx10_clamp 1
		.amdhsa_ieee_mode 1
		.amdhsa_fp16_overflow 0
		.amdhsa_tg_split 0
		.amdhsa_exception_fp_ieee_invalid_op 0
		.amdhsa_exception_fp_denorm_src 0
		.amdhsa_exception_fp_ieee_div_zero 0
		.amdhsa_exception_fp_ieee_overflow 0
		.amdhsa_exception_fp_ieee_underflow 0
		.amdhsa_exception_fp_ieee_inexact 0
		.amdhsa_exception_int_div_zero 0
	.end_amdhsa_kernel
	.text
.Lfunc_end0:
	.size	fft_rtc_fwd_len400_factors_4_10_10_wgs_120_tpt_40_halfLds_half_op_CI_CI_unitstride_sbrr_dirReg, .Lfunc_end0-fft_rtc_fwd_len400_factors_4_10_10_wgs_120_tpt_40_halfLds_half_op_CI_CI_unitstride_sbrr_dirReg
                                        ; -- End function
	.section	.AMDGPU.csdata,"",@progbits
; Kernel info:
; codeLenInByte = 5440
; NumSgprs: 34
; NumVgprs: 57
; NumAgprs: 0
; TotalNumVgprs: 57
; ScratchSize: 0
; MemoryBound: 0
; FloatMode: 240
; IeeeMode: 1
; LDSByteSize: 0 bytes/workgroup (compile time only)
; SGPRBlocks: 4
; VGPRBlocks: 7
; NumSGPRsForWavesPerEU: 34
; NumVGPRsForWavesPerEU: 57
; AccumOffset: 60
; Occupancy: 8
; WaveLimiterHint : 1
; COMPUTE_PGM_RSRC2:SCRATCH_EN: 0
; COMPUTE_PGM_RSRC2:USER_SGPR: 2
; COMPUTE_PGM_RSRC2:TRAP_HANDLER: 0
; COMPUTE_PGM_RSRC2:TGID_X_EN: 1
; COMPUTE_PGM_RSRC2:TGID_Y_EN: 0
; COMPUTE_PGM_RSRC2:TGID_Z_EN: 0
; COMPUTE_PGM_RSRC2:TIDIG_COMP_CNT: 0
; COMPUTE_PGM_RSRC3_GFX90A:ACCUM_OFFSET: 14
; COMPUTE_PGM_RSRC3_GFX90A:TG_SPLIT: 0
	.text
	.p2alignl 6, 3212836864
	.fill 256, 4, 3212836864
	.type	__hip_cuid_ddb535dc58f26216,@object ; @__hip_cuid_ddb535dc58f26216
	.section	.bss,"aw",@nobits
	.globl	__hip_cuid_ddb535dc58f26216
__hip_cuid_ddb535dc58f26216:
	.byte	0                               ; 0x0
	.size	__hip_cuid_ddb535dc58f26216, 1

	.ident	"AMD clang version 19.0.0git (https://github.com/RadeonOpenCompute/llvm-project roc-6.4.0 25133 c7fe45cf4b819c5991fe208aaa96edf142730f1d)"
	.section	".note.GNU-stack","",@progbits
	.addrsig
	.addrsig_sym __hip_cuid_ddb535dc58f26216
	.amdgpu_metadata
---
amdhsa.kernels:
  - .agpr_count:     0
    .args:
      - .actual_access:  read_only
        .address_space:  global
        .offset:         0
        .size:           8
        .value_kind:     global_buffer
      - .offset:         8
        .size:           8
        .value_kind:     by_value
      - .actual_access:  read_only
        .address_space:  global
        .offset:         16
        .size:           8
        .value_kind:     global_buffer
      - .actual_access:  read_only
        .address_space:  global
        .offset:         24
        .size:           8
        .value_kind:     global_buffer
      - .actual_access:  read_only
        .address_space:  global
        .offset:         32
        .size:           8
        .value_kind:     global_buffer
      - .offset:         40
        .size:           8
        .value_kind:     by_value
      - .actual_access:  read_only
        .address_space:  global
        .offset:         48
        .size:           8
        .value_kind:     global_buffer
      - .actual_access:  read_only
        .address_space:  global
        .offset:         56
        .size:           8
        .value_kind:     global_buffer
      - .offset:         64
        .size:           4
        .value_kind:     by_value
      - .actual_access:  read_only
        .address_space:  global
        .offset:         72
        .size:           8
        .value_kind:     global_buffer
      - .actual_access:  read_only
        .address_space:  global
        .offset:         80
        .size:           8
        .value_kind:     global_buffer
      - .actual_access:  read_only
        .address_space:  global
        .offset:         88
        .size:           8
        .value_kind:     global_buffer
      - .actual_access:  write_only
        .address_space:  global
        .offset:         96
        .size:           8
        .value_kind:     global_buffer
    .group_segment_fixed_size: 0
    .kernarg_segment_align: 8
    .kernarg_segment_size: 104
    .language:       OpenCL C
    .language_version:
      - 2
      - 0
    .max_flat_workgroup_size: 120
    .name:           fft_rtc_fwd_len400_factors_4_10_10_wgs_120_tpt_40_halfLds_half_op_CI_CI_unitstride_sbrr_dirReg
    .private_segment_fixed_size: 0
    .sgpr_count:     34
    .sgpr_spill_count: 0
    .symbol:         fft_rtc_fwd_len400_factors_4_10_10_wgs_120_tpt_40_halfLds_half_op_CI_CI_unitstride_sbrr_dirReg.kd
    .uniform_work_group_size: 1
    .uses_dynamic_stack: false
    .vgpr_count:     57
    .vgpr_spill_count: 0
    .wavefront_size: 64
amdhsa.target:   amdgcn-amd-amdhsa--gfx950
amdhsa.version:
  - 1
  - 2
...

	.end_amdgpu_metadata
